;; amdgpu-corpus repo=ROCm/rocFFT kind=compiled arch=gfx906 opt=O3
	.text
	.amdgcn_target "amdgcn-amd-amdhsa--gfx906"
	.amdhsa_code_object_version 6
	.protected	fft_rtc_back_len44_factors_11_4_wgs_64_tpt_4_halfLds_dp_op_CI_CI_unitstride_sbrr_R2C_dirReg ; -- Begin function fft_rtc_back_len44_factors_11_4_wgs_64_tpt_4_halfLds_dp_op_CI_CI_unitstride_sbrr_R2C_dirReg
	.globl	fft_rtc_back_len44_factors_11_4_wgs_64_tpt_4_halfLds_dp_op_CI_CI_unitstride_sbrr_R2C_dirReg
	.p2align	8
	.type	fft_rtc_back_len44_factors_11_4_wgs_64_tpt_4_halfLds_dp_op_CI_CI_unitstride_sbrr_R2C_dirReg,@function
fft_rtc_back_len44_factors_11_4_wgs_64_tpt_4_halfLds_dp_op_CI_CI_unitstride_sbrr_R2C_dirReg: ; @fft_rtc_back_len44_factors_11_4_wgs_64_tpt_4_halfLds_dp_op_CI_CI_unitstride_sbrr_R2C_dirReg
; %bb.0:
	s_load_dwordx4 s[8:11], s[4:5], 0x58
	s_load_dwordx4 s[12:15], s[4:5], 0x0
	;; [unrolled: 1-line block ×3, first 2 shown]
	v_lshrrev_b32_e32 v7, 2, v0
	v_mov_b32_e32 v3, 0
	v_mov_b32_e32 v1, 0
	s_waitcnt lgkmcnt(0)
	v_cmp_lt_u64_e64 s[0:1], s[14:15], 2
	v_lshl_or_b32 v5, s6, 4, v7
	v_mov_b32_e32 v6, v3
	s_and_b64 vcc, exec, s[0:1]
	v_mov_b32_e32 v2, 0
	s_cbranch_vccnz .LBB0_8
; %bb.1:
	s_load_dwordx2 s[0:1], s[4:5], 0x10
	s_add_u32 s2, s18, 8
	s_addc_u32 s3, s19, 0
	s_add_u32 s6, s16, 8
	v_mov_b32_e32 v1, 0
	s_addc_u32 s7, s17, 0
	v_mov_b32_e32 v2, 0
	s_waitcnt lgkmcnt(0)
	s_add_u32 s20, s0, 8
	v_mov_b32_e32 v49, v2
	s_addc_u32 s21, s1, 0
	s_mov_b64 s[22:23], 1
	v_mov_b32_e32 v48, v1
.LBB0_2:                                ; =>This Inner Loop Header: Depth=1
	s_load_dwordx2 s[24:25], s[20:21], 0x0
                                        ; implicit-def: $vgpr52_vgpr53
	s_waitcnt lgkmcnt(0)
	v_or_b32_e32 v4, s25, v6
	v_cmp_ne_u64_e32 vcc, 0, v[3:4]
	s_and_saveexec_b64 s[0:1], vcc
	s_xor_b64 s[26:27], exec, s[0:1]
	s_cbranch_execz .LBB0_4
; %bb.3:                                ;   in Loop: Header=BB0_2 Depth=1
	v_cvt_f32_u32_e32 v4, s24
	v_cvt_f32_u32_e32 v8, s25
	s_sub_u32 s0, 0, s24
	s_subb_u32 s1, 0, s25
	v_mac_f32_e32 v4, 0x4f800000, v8
	v_rcp_f32_e32 v4, v4
	v_mul_f32_e32 v4, 0x5f7ffffc, v4
	v_mul_f32_e32 v8, 0x2f800000, v4
	v_trunc_f32_e32 v8, v8
	v_mac_f32_e32 v4, 0xcf800000, v8
	v_cvt_u32_f32_e32 v8, v8
	v_cvt_u32_f32_e32 v4, v4
	v_mul_lo_u32 v9, s0, v8
	v_mul_hi_u32 v10, s0, v4
	v_mul_lo_u32 v12, s1, v4
	v_mul_lo_u32 v11, s0, v4
	v_add_u32_e32 v9, v10, v9
	v_add_u32_e32 v9, v9, v12
	v_mul_hi_u32 v10, v4, v11
	v_mul_lo_u32 v12, v4, v9
	v_mul_hi_u32 v14, v4, v9
	v_mul_hi_u32 v13, v8, v11
	v_mul_lo_u32 v11, v8, v11
	v_mul_hi_u32 v15, v8, v9
	v_add_co_u32_e32 v10, vcc, v10, v12
	v_addc_co_u32_e32 v12, vcc, 0, v14, vcc
	v_mul_lo_u32 v9, v8, v9
	v_add_co_u32_e32 v10, vcc, v10, v11
	v_addc_co_u32_e32 v10, vcc, v12, v13, vcc
	v_addc_co_u32_e32 v11, vcc, 0, v15, vcc
	v_add_co_u32_e32 v9, vcc, v10, v9
	v_addc_co_u32_e32 v10, vcc, 0, v11, vcc
	v_add_co_u32_e32 v4, vcc, v4, v9
	v_addc_co_u32_e32 v8, vcc, v8, v10, vcc
	v_mul_lo_u32 v9, s0, v8
	v_mul_hi_u32 v10, s0, v4
	v_mul_lo_u32 v11, s1, v4
	v_mul_lo_u32 v12, s0, v4
	v_add_u32_e32 v9, v10, v9
	v_add_u32_e32 v9, v9, v11
	v_mul_lo_u32 v13, v4, v9
	v_mul_hi_u32 v14, v4, v12
	v_mul_hi_u32 v15, v4, v9
	v_mul_hi_u32 v11, v8, v12
	v_mul_lo_u32 v12, v8, v12
	v_mul_hi_u32 v10, v8, v9
	v_add_co_u32_e32 v13, vcc, v14, v13
	v_addc_co_u32_e32 v14, vcc, 0, v15, vcc
	v_mul_lo_u32 v9, v8, v9
	v_add_co_u32_e32 v12, vcc, v13, v12
	v_addc_co_u32_e32 v11, vcc, v14, v11, vcc
	v_addc_co_u32_e32 v10, vcc, 0, v10, vcc
	v_add_co_u32_e32 v9, vcc, v11, v9
	v_addc_co_u32_e32 v10, vcc, 0, v10, vcc
	v_add_co_u32_e32 v4, vcc, v4, v9
	v_addc_co_u32_e32 v10, vcc, v8, v10, vcc
	v_mad_u64_u32 v[8:9], s[0:1], v5, v10, 0
	v_mul_hi_u32 v11, v5, v4
	v_add_co_u32_e32 v12, vcc, v11, v8
	v_addc_co_u32_e32 v13, vcc, 0, v9, vcc
	v_mad_u64_u32 v[8:9], s[0:1], v6, v4, 0
	v_mad_u64_u32 v[10:11], s[0:1], v6, v10, 0
	v_add_co_u32_e32 v4, vcc, v12, v8
	v_addc_co_u32_e32 v4, vcc, v13, v9, vcc
	v_addc_co_u32_e32 v8, vcc, 0, v11, vcc
	v_add_co_u32_e32 v4, vcc, v4, v10
	v_addc_co_u32_e32 v10, vcc, 0, v8, vcc
	v_mul_lo_u32 v11, s25, v4
	v_mul_lo_u32 v12, s24, v10
	v_mad_u64_u32 v[8:9], s[0:1], s24, v4, 0
	v_add3_u32 v9, v9, v12, v11
	v_sub_u32_e32 v11, v6, v9
	v_mov_b32_e32 v12, s25
	v_sub_co_u32_e32 v8, vcc, v5, v8
	v_subb_co_u32_e64 v11, s[0:1], v11, v12, vcc
	v_subrev_co_u32_e64 v12, s[0:1], s24, v8
	v_subbrev_co_u32_e64 v11, s[0:1], 0, v11, s[0:1]
	v_cmp_le_u32_e64 s[0:1], s25, v11
	v_cndmask_b32_e64 v13, 0, -1, s[0:1]
	v_cmp_le_u32_e64 s[0:1], s24, v12
	v_cndmask_b32_e64 v12, 0, -1, s[0:1]
	v_cmp_eq_u32_e64 s[0:1], s25, v11
	v_cndmask_b32_e64 v11, v13, v12, s[0:1]
	v_add_co_u32_e64 v12, s[0:1], 2, v4
	v_addc_co_u32_e64 v13, s[0:1], 0, v10, s[0:1]
	v_add_co_u32_e64 v14, s[0:1], 1, v4
	v_addc_co_u32_e64 v15, s[0:1], 0, v10, s[0:1]
	v_subb_co_u32_e32 v9, vcc, v6, v9, vcc
	v_cmp_ne_u32_e64 s[0:1], 0, v11
	v_cmp_le_u32_e32 vcc, s25, v9
	v_cndmask_b32_e64 v11, v15, v13, s[0:1]
	v_cndmask_b32_e64 v13, 0, -1, vcc
	v_cmp_le_u32_e32 vcc, s24, v8
	v_cndmask_b32_e64 v8, 0, -1, vcc
	v_cmp_eq_u32_e32 vcc, s25, v9
	v_cndmask_b32_e32 v8, v13, v8, vcc
	v_cmp_ne_u32_e32 vcc, 0, v8
	v_cndmask_b32_e64 v8, v14, v12, s[0:1]
	v_cndmask_b32_e32 v53, v10, v11, vcc
	v_cndmask_b32_e32 v52, v4, v8, vcc
.LBB0_4:                                ;   in Loop: Header=BB0_2 Depth=1
	s_andn2_saveexec_b64 s[0:1], s[26:27]
	s_cbranch_execz .LBB0_6
; %bb.5:                                ;   in Loop: Header=BB0_2 Depth=1
	v_cvt_f32_u32_e32 v4, s24
	s_sub_i32 s26, 0, s24
	v_mov_b32_e32 v53, v3
	v_rcp_iflag_f32_e32 v4, v4
	v_mul_f32_e32 v4, 0x4f7ffffe, v4
	v_cvt_u32_f32_e32 v4, v4
	v_mul_lo_u32 v8, s26, v4
	v_mul_hi_u32 v8, v4, v8
	v_add_u32_e32 v4, v4, v8
	v_mul_hi_u32 v4, v5, v4
	v_mul_lo_u32 v8, v4, s24
	v_add_u32_e32 v9, 1, v4
	v_sub_u32_e32 v8, v5, v8
	v_subrev_u32_e32 v10, s24, v8
	v_cmp_le_u32_e32 vcc, s24, v8
	v_cndmask_b32_e32 v8, v8, v10, vcc
	v_cndmask_b32_e32 v4, v4, v9, vcc
	v_add_u32_e32 v9, 1, v4
	v_cmp_le_u32_e32 vcc, s24, v8
	v_cndmask_b32_e32 v52, v4, v9, vcc
.LBB0_6:                                ;   in Loop: Header=BB0_2 Depth=1
	s_or_b64 exec, exec, s[0:1]
	v_mul_lo_u32 v4, v53, s24
	v_mul_lo_u32 v10, v52, s25
	v_mad_u64_u32 v[8:9], s[0:1], v52, s24, 0
	s_load_dwordx2 s[0:1], s[6:7], 0x0
	s_load_dwordx2 s[24:25], s[2:3], 0x0
	v_add3_u32 v4, v9, v10, v4
	v_sub_co_u32_e32 v5, vcc, v5, v8
	v_subb_co_u32_e32 v4, vcc, v6, v4, vcc
	s_waitcnt lgkmcnt(0)
	v_mul_lo_u32 v6, s0, v4
	v_mul_lo_u32 v8, s1, v5
	v_mad_u64_u32 v[1:2], s[0:1], s0, v5, v[1:2]
	v_mul_lo_u32 v4, s24, v4
	v_mul_lo_u32 v9, s25, v5
	v_mad_u64_u32 v[48:49], s[0:1], s24, v5, v[48:49]
	s_add_u32 s22, s22, 1
	s_addc_u32 s23, s23, 0
	s_add_u32 s2, s2, 8
	v_add3_u32 v49, v9, v49, v4
	s_addc_u32 s3, s3, 0
	v_mov_b32_e32 v4, s14
	s_add_u32 s6, s6, 8
	v_mov_b32_e32 v5, s15
	s_addc_u32 s7, s7, 0
	v_cmp_ge_u64_e32 vcc, s[22:23], v[4:5]
	s_add_u32 s20, s20, 8
	v_add3_u32 v2, v8, v2, v6
	s_addc_u32 s21, s21, 0
	s_cbranch_vccnz .LBB0_9
; %bb.7:                                ;   in Loop: Header=BB0_2 Depth=1
	v_mov_b32_e32 v5, v52
	v_mov_b32_e32 v6, v53
	s_branch .LBB0_2
.LBB0_8:
	v_mov_b32_e32 v49, v2
	v_mov_b32_e32 v53, v6
	;; [unrolled: 1-line block ×4, first 2 shown]
.LBB0_9:
	s_load_dwordx2 s[0:1], s[4:5], 0x28
	s_lshl_b64 s[6:7], s[14:15], 3
	s_add_u32 s2, s18, s6
	s_addc_u32 s3, s19, s7
	v_and_b32_e32 v50, 3, v0
	s_waitcnt lgkmcnt(0)
	v_cmp_gt_u64_e32 vcc, s[0:1], v[52:53]
	v_cmp_le_u64_e64 s[0:1], s[0:1], v[52:53]
                                        ; implicit-def: $vgpr55
                                        ; implicit-def: $vgpr54
	s_and_saveexec_b64 s[4:5], s[0:1]
	s_xor_b64 s[0:1], exec, s[4:5]
; %bb.10:
	v_and_b32_e32 v50, 3, v0
	v_or_b32_e32 v55, 4, v50
	v_or_b32_e32 v54, 8, v50
                                        ; implicit-def: $vgpr1_vgpr2
; %bb.11:
	s_or_saveexec_b64 s[4:5], s[0:1]
	v_mul_u32_u24_e32 v0, 45, v7
	v_lshlrev_b32_e32 v51, 4, v0
	s_xor_b64 exec, exec, s[4:5]
	s_cbranch_execz .LBB0_13
; %bb.12:
	s_add_u32 s0, s16, s6
	s_addc_u32 s1, s17, s7
	s_load_dwordx2 s[0:1], s[0:1], 0x0
	v_lshlrev_b64 v[0:1], 4, v[1:2]
	v_mov_b32_e32 v7, s9
	v_lshlrev_b32_e32 v46, 4, v50
	v_or_b32_e32 v55, 4, v50
	s_waitcnt lgkmcnt(0)
	v_mul_lo_u32 v5, s1, v52
	v_mul_lo_u32 v6, s0, v53
	v_mad_u64_u32 v[3:4], s[0:1], s0, v52, 0
	v_or_b32_e32 v54, 8, v50
	v_add3_u32 v4, v4, v6, v5
	v_lshlrev_b64 v[2:3], 4, v[3:4]
	v_add_co_u32_e64 v2, s[0:1], s8, v2
	v_addc_co_u32_e64 v3, s[0:1], v7, v3, s[0:1]
	v_add_co_u32_e64 v0, s[0:1], v2, v0
	v_addc_co_u32_e64 v1, s[0:1], v3, v1, s[0:1]
	;; [unrolled: 2-line block ×3, first 2 shown]
	global_load_dwordx4 v[0:3], v[44:45], off
	global_load_dwordx4 v[4:7], v[44:45], off offset:64
	global_load_dwordx4 v[8:11], v[44:45], off offset:128
	;; [unrolled: 1-line block ×10, first 2 shown]
	v_add3_u32 v44, 0, v51, v46
	s_waitcnt vmcnt(10)
	ds_write_b128 v44, v[0:3]
	s_waitcnt vmcnt(9)
	ds_write_b128 v44, v[4:7] offset:64
	s_waitcnt vmcnt(8)
	ds_write_b128 v44, v[8:11] offset:128
	;; [unrolled: 2-line block ×10, first 2 shown]
.LBB0_13:
	s_or_b64 exec, exec, s[4:5]
	v_add_u32_e32 v58, 0, v51
	v_lshlrev_b32_e32 v60, 4, v50
	v_add_u32_e32 v59, v58, v60
	s_load_dwordx2 s[6:7], s[2:3], 0x0
	s_waitcnt lgkmcnt(0)
	; wave barrier
	s_waitcnt lgkmcnt(0)
	v_add3_u32 v61, 0, v60, v51
	ds_read_b128 v[0:3], v59
	ds_read_b128 v[4:7], v61 offset:64
	ds_read_b128 v[8:11], v61 offset:128
	;; [unrolled: 1-line block ×3, first 2 shown]
	s_mov_b32 s20, 0xf8bb580b
	s_mov_b32 s2, 0x8eee2c13
	;; [unrolled: 1-line block ×3, first 2 shown]
	s_waitcnt lgkmcnt(2)
	v_add_f64 v[16:17], v[0:1], v[4:5]
	v_add_f64 v[18:19], v[2:3], v[6:7]
	s_mov_b32 s14, 0xbb3a28a1
	s_mov_b32 s18, 0xfd768dbf
	;; [unrolled: 1-line block ×6, first 2 shown]
	s_waitcnt lgkmcnt(1)
	v_add_f64 v[16:17], v[16:17], v[8:9]
	v_add_f64 v[18:19], v[18:19], v[10:11]
	s_mov_b32 s19, 0xbfd207e7
	ds_read_b128 v[20:23], v61 offset:320
	s_mov_b32 s16, 0x8764f0ba
	s_mov_b32 s8, 0xd9c712b6
	;; [unrolled: 1-line block ×4, first 2 shown]
	s_waitcnt lgkmcnt(1)
	v_add_f64 v[24:25], v[16:17], v[12:13]
	v_add_f64 v[26:27], v[18:19], v[14:15]
	ds_read_b128 v[16:19], v61 offset:256
	s_mov_b32 s34, 0x9bcd5057
	s_mov_b32 s17, 0x3feaeb8c
	;; [unrolled: 1-line block ×5, first 2 shown]
	s_waitcnt lgkmcnt(0)
	v_add_f64 v[24:25], v[24:25], v[16:17]
	v_add_f64 v[26:27], v[26:27], v[18:19]
	s_mov_b32 s35, 0xbfeeb42a
	s_mov_b32 s29, 0x3fe14ced
	;; [unrolled: 1-line block ×6, first 2 shown]
	v_add_f64 v[44:45], v[24:25], v[20:21]
	v_add_f64 v[46:47], v[26:27], v[22:23]
	ds_read_b128 v[24:27], v61 offset:384
	ds_read_b128 v[28:31], v61 offset:448
	;; [unrolled: 1-line block ×5, first 2 shown]
	s_waitcnt lgkmcnt(4)
	v_add_f64 v[56:57], v[20:21], v[24:25]
	s_waitcnt lgkmcnt(3)
	v_add_f64 v[68:69], v[16:17], v[28:29]
	v_add_f64 v[70:71], v[18:19], v[30:31]
	v_add_f64 v[72:73], v[16:17], -v[28:29]
	v_add_f64 v[74:75], v[18:19], -v[30:31]
	v_add_f64 v[44:45], v[44:45], v[24:25]
	v_add_f64 v[46:47], v[46:47], v[26:27]
	v_add_f64 v[64:65], v[20:21], -v[24:25]
	s_waitcnt lgkmcnt(0)
	v_add_f64 v[20:21], v[6:7], -v[42:43]
	v_add_f64 v[62:63], v[22:23], v[26:27]
	v_add_f64 v[66:67], v[22:23], -v[26:27]
	v_add_f64 v[76:77], v[8:9], v[36:37]
	v_add_f64 v[6:7], v[6:7], v[42:43]
	;; [unrolled: 1-line block ×6, first 2 shown]
	v_add_f64 v[44:45], v[12:13], -v[32:33]
	v_add_f64 v[46:47], v[14:15], -v[34:35]
	v_mul_f64 v[22:23], v[20:21], s[0:1]
	v_mul_f64 v[24:25], v[20:21], s[14:15]
	v_add_f64 v[12:13], v[16:17], v[32:33]
	v_add_f64 v[14:15], v[18:19], v[34:35]
	v_add_f64 v[34:35], v[8:9], -v[36:37]
	v_add_f64 v[8:9], v[4:5], v[40:41]
	v_mul_f64 v[16:17], v[20:21], s[20:21]
	v_mul_f64 v[18:19], v[20:21], s[2:3]
	;; [unrolled: 1-line block ×3, first 2 shown]
	v_add_f64 v[32:33], v[10:11], v[38:39]
	v_add_f64 v[12:13], v[12:13], v[36:37]
	;; [unrolled: 1-line block ×3, first 2 shown]
	v_add_f64 v[10:11], v[10:11], -v[38:39]
	v_add_f64 v[4:5], v[4:5], -v[40:41]
	v_fma_f64 v[26:27], v[8:9], s[16:17], v[16:17]
	v_fma_f64 v[16:17], v[8:9], s[16:17], -v[16:17]
	v_fma_f64 v[36:37], v[8:9], s[8:9], v[18:19]
	v_fma_f64 v[18:19], v[8:9], s[8:9], -v[18:19]
	v_add_f64 v[12:13], v[12:13], v[40:41]
	v_add_f64 v[14:15], v[14:15], v[42:43]
	v_fma_f64 v[38:39], v[8:9], s[4:5], v[22:23]
	v_fma_f64 v[22:23], v[8:9], s[4:5], -v[22:23]
	v_fma_f64 v[40:41], v[8:9], s[24:25], v[24:25]
	v_fma_f64 v[24:25], v[8:9], s[24:25], -v[24:25]
	v_mul_f64 v[42:43], v[6:7], s[16:17]
	v_fma_f64 v[78:79], v[8:9], s[34:35], v[20:21]
	v_fma_f64 v[8:9], v[8:9], s[34:35], -v[20:21]
	v_mul_f64 v[20:21], v[6:7], s[8:9]
	v_mul_f64 v[82:83], v[6:7], s[4:5]
	;; [unrolled: 1-line block ×4, first 2 shown]
	s_mov_b32 s26, s0
	v_fma_f64 v[80:81], v[4:5], s[28:29], v[42:43]
	s_mov_b32 s31, 0x3fe82f19
	s_mov_b32 s30, s14
	v_fma_f64 v[84:85], v[4:5], s[22:23], v[20:21]
	s_mov_b32 s37, 0x3fd207e7
	s_mov_b32 s36, s18
	v_fma_f64 v[42:43], v[4:5], s[20:21], v[42:43]
	v_fma_f64 v[20:21], v[4:5], s[2:3], v[20:21]
	;; [unrolled: 1-line block ×8, first 2 shown]
	v_add_f64 v[6:7], v[0:1], v[26:27]
	v_add_f64 v[26:27], v[2:3], v[80:81]
	;; [unrolled: 1-line block ×4, first 2 shown]
	v_mul_f64 v[18:19], v[10:11], s[2:3]
	v_mul_f64 v[94:95], v[32:33], s[8:9]
	v_add_f64 v[96:97], v[0:1], v[22:23]
	v_mul_f64 v[100:101], v[46:47], s[0:1]
	v_mul_f64 v[102:103], v[30:31], s[4:5]
	v_add_f64 v[104:105], v[0:1], v[24:25]
	v_mul_f64 v[106:107], v[70:71], s[24:25]
	v_add_f64 v[16:17], v[0:1], v[16:17]
	v_fma_f64 v[22:23], v[76:77], s[8:9], v[18:19]
	v_fma_f64 v[98:99], v[34:35], s[22:23], v[94:95]
	v_add_f64 v[42:43], v[2:3], v[42:43]
	v_fma_f64 v[24:25], v[28:29], s[4:5], v[100:101]
	v_add_f64 v[36:37], v[0:1], v[36:37]
	v_add_f64 v[20:21], v[2:3], v[20:21]
	;; [unrolled: 1-line block ×6, first 2 shown]
	v_fma_f64 v[26:27], v[44:45], s[26:27], v[102:103]
	v_mul_f64 v[98:99], v[74:75], s[14:15]
	v_add_f64 v[82:83], v[2:3], v[82:83]
	v_add_f64 v[40:41], v[0:1], v[40:41]
	;; [unrolled: 1-line block ×8, first 2 shown]
	v_fma_f64 v[0:1], v[76:77], s[8:9], -v[18:19]
	v_fma_f64 v[2:3], v[34:35], s[2:3], v[94:95]
	v_add_f64 v[4:5], v[24:25], v[6:7]
	v_add_f64 v[6:7], v[26:27], v[22:23]
	v_fma_f64 v[8:9], v[68:69], s[24:25], v[98:99]
	v_fma_f64 v[18:19], v[72:73], s[30:31], v[106:107]
	v_mul_f64 v[22:23], v[66:67], s[18:19]
	v_mul_f64 v[24:25], v[62:63], s[34:35]
	v_add_f64 v[0:1], v[0:1], v[16:17]
	v_add_f64 v[2:3], v[2:3], v[42:43]
	v_fma_f64 v[16:17], v[28:29], s[4:5], -v[100:101]
	v_fma_f64 v[26:27], v[44:45], s[0:1], v[102:103]
	v_add_f64 v[4:5], v[8:9], v[4:5]
	v_add_f64 v[6:7], v[18:19], v[6:7]
	v_fma_f64 v[8:9], v[56:57], s[34:35], v[22:23]
	v_fma_f64 v[18:19], v[64:65], s[36:37], v[24:25]
	v_mul_f64 v[42:43], v[10:11], s[14:15]
	v_mul_f64 v[94:95], v[32:33], s[24:25]
	v_add_f64 v[0:1], v[16:17], v[0:1]
	v_add_f64 v[2:3], v[26:27], v[2:3]
	;; [unrolled: 10-line block ×9, first 2 shown]
	v_fma_f64 v[26:27], v[28:29], s[8:9], -v[26:27]
	v_fma_f64 v[36:37], v[44:45], s[22:23], v[36:37]
	v_add_f64 v[38:39], v[80:81], v[38:39]
	v_add_f64 v[42:43], v[84:85], v[42:43]
	v_fma_f64 v[80:81], v[56:57], s[24:25], v[88:89]
	v_mul_f64 v[82:83], v[10:11], s[26:27]
	v_mul_f64 v[84:85], v[32:33], s[4:5]
	v_fma_f64 v[96:97], v[64:65], s[30:31], v[94:95]
	v_add_f64 v[8:9], v[26:27], v[8:9]
	v_add_f64 v[36:37], v[36:37], v[24:25]
	v_fma_f64 v[98:99], v[68:69], s[16:17], -v[102:103]
	v_fma_f64 v[100:101], v[72:73], s[20:21], v[106:107]
	v_add_f64 v[24:25], v[80:81], v[38:39]
	v_fma_f64 v[38:39], v[76:77], s[4:5], v[82:83]
	v_fma_f64 v[80:81], v[34:35], s[0:1], v[84:85]
	v_mul_f64 v[102:103], v[46:47], s[20:21]
	v_mul_f64 v[106:107], v[30:31], s[16:17]
	v_add_f64 v[26:27], v[96:97], v[42:43]
	v_add_f64 v[8:9], v[98:99], v[8:9]
	v_fma_f64 v[42:43], v[56:57], s[24:25], -v[88:89]
	v_add_f64 v[36:37], v[100:101], v[36:37]
	v_add_f64 v[38:39], v[38:39], v[40:41]
	v_add_f64 v[40:41], v[80:81], v[90:91]
	v_fma_f64 v[80:81], v[28:29], s[16:17], v[102:103]
	v_fma_f64 v[88:89], v[44:45], s[28:29], v[106:107]
	v_mul_f64 v[90:91], v[74:75], s[18:19]
	v_fma_f64 v[94:95], v[64:65], s[14:15], v[94:95]
	v_add_f64 v[8:9], v[42:43], v[8:9]
	v_fma_f64 v[82:83], v[76:77], s[4:5], -v[82:83]
	v_fma_f64 v[84:85], v[34:35], s[26:27], v[84:85]
	v_mul_f64 v[96:97], v[70:71], s[34:35]
	v_add_f64 v[38:39], v[80:81], v[38:39]
	v_add_f64 v[40:41], v[88:89], v[40:41]
	v_fma_f64 v[42:43], v[68:69], s[34:35], v[90:91]
	v_mul_f64 v[88:89], v[10:11], s[28:29]
	v_add_f64 v[10:11], v[94:95], v[36:37]
	v_add_f64 v[82:83], v[82:83], v[104:105]
	;; [unrolled: 1-line block ×3, first 2 shown]
	v_fma_f64 v[86:87], v[28:29], s[16:17], -v[102:103]
	v_mul_f64 v[32:33], v[32:33], s[16:17]
	v_mul_f64 v[74:75], v[74:75], s[22:23]
	v_add_f64 v[36:37], v[42:43], v[38:39]
	v_fma_f64 v[38:39], v[76:77], s[16:17], v[88:89]
	v_mul_f64 v[42:43], v[46:47], s[14:15]
	v_fma_f64 v[80:81], v[72:73], s[36:37], v[96:97]
	v_fma_f64 v[98:99], v[44:45], s[20:21], v[106:107]
	v_add_f64 v[46:47], v[86:87], v[82:83]
	v_fma_f64 v[82:83], v[34:35], s[20:21], v[32:33]
	v_mul_f64 v[30:31], v[30:31], s[24:25]
	v_fma_f64 v[32:33], v[34:35], s[28:29], v[32:33]
	v_add_f64 v[38:39], v[38:39], v[78:79]
	v_fma_f64 v[78:79], v[28:29], s[24:25], v[42:43]
	v_fma_f64 v[76:77], v[76:77], s[16:17], -v[88:89]
	v_mul_f64 v[34:35], v[70:71], s[8:9]
	v_fma_f64 v[70:71], v[68:69], s[8:9], v[74:75]
	v_add_f64 v[40:41], v[80:81], v[40:41]
	v_add_f64 v[80:81], v[98:99], v[84:85]
	v_fma_f64 v[84:85], v[68:69], s[34:35], -v[90:91]
	v_add_f64 v[82:83], v[82:83], v[92:93]
	v_add_f64 v[38:39], v[78:79], v[38:39]
	v_fma_f64 v[88:89], v[44:45], s[30:31], v[30:31]
	v_add_f64 v[32:33], v[32:33], v[110:111]
	v_fma_f64 v[30:31], v[44:45], s[14:15], v[30:31]
	v_add_f64 v[76:77], v[76:77], v[108:109]
	v_fma_f64 v[28:29], v[28:29], s[24:25], -v[42:43]
	v_fma_f64 v[68:69], v[68:69], s[8:9], -v[74:75]
	v_mul_f64 v[74:75], v[62:63], s[8:9]
	v_add_f64 v[38:39], v[70:71], v[38:39]
	v_mul_f64 v[70:71], v[66:67], s[22:23]
	v_fma_f64 v[86:87], v[72:73], s[18:19], v[96:97]
	v_add_f64 v[42:43], v[84:85], v[46:47]
	v_add_f64 v[46:47], v[88:89], v[82:83]
	v_fma_f64 v[78:79], v[72:73], s[2:3], v[34:35]
	v_add_f64 v[30:31], v[30:31], v[32:33]
	v_fma_f64 v[32:33], v[72:73], s[22:23], v[34:35]
	v_mul_f64 v[34:35], v[66:67], s[0:1]
	v_mul_f64 v[62:63], v[62:63], s[4:5]
	v_add_f64 v[28:29], v[28:29], v[76:77]
	v_fma_f64 v[66:67], v[56:57], s[8:9], v[70:71]
	v_fma_f64 v[72:73], v[64:65], s[2:3], v[74:75]
	v_add_f64 v[44:45], v[86:87], v[80:81]
	v_add_f64 v[46:47], v[78:79], v[46:47]
	v_fma_f64 v[70:71], v[56:57], s[8:9], -v[70:71]
	v_fma_f64 v[78:79], v[56:57], s[4:5], v[34:35]
	v_fma_f64 v[80:81], v[64:65], s[26:27], v[62:63]
	v_add_f64 v[68:69], v[68:69], v[28:29]
	v_add_f64 v[76:77], v[32:33], v[30:31]
	v_fma_f64 v[56:57], v[56:57], s[4:5], -v[34:35]
	v_fma_f64 v[62:63], v[64:65], s[0:1], v[62:63]
	v_fma_f64 v[74:75], v[64:65], s[22:23], v[74:75]
	v_add_f64 v[28:29], v[66:67], v[36:37]
	v_add_f64 v[30:31], v[72:73], v[40:41]
	;; [unrolled: 1-line block ×7, first 2 shown]
	s_movk_i32 s0, 0xa0
	v_add_f64 v[34:35], v[74:75], v[44:45]
	v_mad_u32_u24 v44, v50, s0, v61
	s_waitcnt lgkmcnt(0)
	; wave barrier
	ds_write_b128 v44, v[12:15]
	ds_write_b128 v44, v[16:19] offset:16
	ds_write_b128 v44, v[20:23] offset:32
	;; [unrolled: 1-line block ×10, first 2 shown]
	s_waitcnt lgkmcnt(0)
	; wave barrier
	s_waitcnt lgkmcnt(0)
	v_lshl_add_u32 v62, v55, 4, v58
	ds_read_b128 v[16:19], v59
	ds_read_b128 v[44:47], v61 offset:176
	ds_read_b128 v[36:39], v61 offset:352
	;; [unrolled: 1-line block ×5, first 2 shown]
	ds_read_b128 v[20:23], v62
	ds_read_b128 v[32:35], v61 offset:592
	v_cmp_eq_u32_e64 s[0:1], 3, v50
	v_cmp_ne_u32_e64 s[2:3], 3, v50
	v_lshlrev_b32_e32 v63, 4, v54
                                        ; implicit-def: $vgpr14_vgpr15
	s_and_saveexec_b64 s[4:5], s[2:3]
	s_cbranch_execz .LBB0_15
; %bb.14:
	v_add3_u32 v8, 0, v63, v51
	ds_read_b128 v[4:7], v61 offset:304
	ds_read_b128 v[0:3], v61 offset:480
	ds_read_b128 v[8:11], v8
	ds_read_b128 v[12:15], v61 offset:656
.LBB0_15:
	s_or_b64 exec, exec, s[4:5]
	v_mul_u32_u24_e32 v56, 3, v50
	v_lshlrev_b32_e32 v56, 4, v56
	global_load_dwordx4 v[64:67], v56, s[12:13] offset:32
	global_load_dwordx4 v[68:71], v56, s[12:13] offset:16
	global_load_dwordx4 v[72:75], v56, s[12:13]
	v_mul_i32_i24_e32 v56, 3, v55
	v_mov_b32_e32 v57, 0
	v_lshlrev_b64 v[76:77], 4, v[56:57]
	v_mov_b32_e32 v56, s13
	v_add_co_u32_e64 v88, s[4:5], s12, v76
	v_addc_co_u32_e64 v89, s[4:5], v56, v77, s[4:5]
	global_load_dwordx4 v[76:79], v[88:89], off
	global_load_dwordx4 v[80:83], v[88:89], off offset:16
	global_load_dwordx4 v[84:87], v[88:89], off offset:32
	s_waitcnt lgkmcnt(0)
	; wave barrier
	s_waitcnt vmcnt(5) lgkmcnt(0)
	v_mul_f64 v[92:93], v[42:43], v[66:67]
	s_waitcnt vmcnt(4)
	v_mul_f64 v[90:91], v[38:39], v[70:71]
	s_waitcnt vmcnt(3)
	v_mul_f64 v[88:89], v[46:47], v[74:75]
	v_mul_f64 v[74:75], v[44:45], v[74:75]
	;; [unrolled: 1-line block ×4, first 2 shown]
	v_fma_f64 v[40:41], v[40:41], v[64:65], v[92:93]
	s_waitcnt vmcnt(2)
	v_mul_f64 v[94:95], v[26:27], v[78:79]
	v_mul_f64 v[78:79], v[24:25], v[78:79]
	s_waitcnt vmcnt(1)
	v_mul_f64 v[96:97], v[30:31], v[82:83]
	v_mul_f64 v[82:83], v[28:29], v[82:83]
	;; [unrolled: 3-line block ×3, first 2 shown]
	v_fma_f64 v[44:45], v[44:45], v[72:73], v[88:89]
	v_fma_f64 v[46:47], v[46:47], v[72:73], -v[74:75]
	v_fma_f64 v[36:37], v[36:37], v[68:69], v[90:91]
	v_fma_f64 v[38:39], v[38:39], v[68:69], -v[70:71]
	v_fma_f64 v[42:43], v[42:43], v[64:65], -v[66:67]
	v_fma_f64 v[24:25], v[24:25], v[76:77], v[94:95]
	v_fma_f64 v[26:27], v[26:27], v[76:77], -v[78:79]
	v_fma_f64 v[28:29], v[28:29], v[80:81], v[96:97]
	;; [unrolled: 2-line block ×3, first 2 shown]
	v_fma_f64 v[34:35], v[34:35], v[84:85], -v[86:87]
	v_add_f64 v[36:37], v[16:17], -v[36:37]
	v_add_f64 v[38:39], v[18:19], -v[38:39]
	;; [unrolled: 1-line block ×8, first 2 shown]
	v_fma_f64 v[68:69], v[16:17], 2.0, -v[36:37]
	v_fma_f64 v[70:71], v[18:19], 2.0, -v[38:39]
	;; [unrolled: 1-line block ×8, first 2 shown]
	v_add_f64 v[16:17], v[36:37], v[42:43]
	v_add_f64 v[18:19], v[38:39], -v[40:41]
	v_add_f64 v[24:25], v[68:69], -v[32:33]
	;; [unrolled: 1-line block ×3, first 2 shown]
	v_add_f64 v[20:21], v[64:65], v[30:31]
	v_add_f64 v[22:23], v[66:67], -v[28:29]
	v_add_f64 v[28:29], v[44:45], -v[72:73]
	;; [unrolled: 1-line block ×3, first 2 shown]
	v_fma_f64 v[32:33], v[36:37], 2.0, -v[16:17]
	v_fma_f64 v[34:35], v[38:39], 2.0, -v[18:19]
	;; [unrolled: 1-line block ×8, first 2 shown]
	ds_write_b128 v61, v[16:19] offset:528
	ds_write_b128 v61, v[32:35] offset:176
	;; [unrolled: 1-line block ×3, first 2 shown]
	ds_write_b128 v61, v[40:43]
	ds_write_b128 v62, v[36:39] offset:176
	ds_write_b128 v62, v[28:31] offset:352
	ds_write_b128 v62, v[44:47]
	ds_write_b128 v62, v[20:23] offset:528
	s_and_saveexec_b64 s[4:5], s[2:3]
	s_cbranch_execz .LBB0_17
; %bb.16:
	v_mul_i32_i24_e32 v16, 3, v54
	v_cndmask_b32_e64 v56, v16, 0, s[0:1]
	v_lshlrev_b64 v[16:17], 4, v[56:57]
	v_mov_b32_e32 v18, s13
	v_add_co_u32_e64 v28, s[0:1], s12, v16
	v_addc_co_u32_e64 v29, s[0:1], v18, v17, s[0:1]
	global_load_dwordx4 v[16:19], v[28:29], off offset:16
	global_load_dwordx4 v[20:23], v[28:29], off
	global_load_dwordx4 v[24:27], v[28:29], off offset:32
	s_waitcnt vmcnt(2)
	v_mul_f64 v[28:29], v[0:1], v[18:19]
	s_waitcnt vmcnt(1)
	v_mul_f64 v[30:31], v[6:7], v[22:23]
	v_mul_f64 v[22:23], v[4:5], v[22:23]
	s_waitcnt vmcnt(0)
	v_mul_f64 v[32:33], v[12:13], v[26:27]
	v_mul_f64 v[18:19], v[2:3], v[18:19]
	;; [unrolled: 1-line block ×3, first 2 shown]
	v_fma_f64 v[2:3], v[2:3], v[16:17], -v[28:29]
	v_fma_f64 v[4:5], v[4:5], v[20:21], v[30:31]
	v_fma_f64 v[6:7], v[6:7], v[20:21], -v[22:23]
	v_fma_f64 v[14:15], v[14:15], v[24:25], -v[32:33]
	v_fma_f64 v[0:1], v[0:1], v[16:17], v[18:19]
	v_fma_f64 v[12:13], v[12:13], v[24:25], v[26:27]
	v_add_f64 v[16:17], v[10:11], -v[2:3]
	v_add_f64 v[14:15], v[6:7], -v[14:15]
	;; [unrolled: 1-line block ×4, first 2 shown]
	v_fma_f64 v[12:13], v[10:11], 2.0, -v[16:17]
	v_fma_f64 v[6:7], v[6:7], 2.0, -v[14:15]
	;; [unrolled: 1-line block ×4, first 2 shown]
	v_add_f64 v[2:3], v[16:17], -v[0:1]
	v_add_f64 v[0:1], v[18:19], v[14:15]
	v_add_f64 v[6:7], v[12:13], -v[6:7]
	v_add_f64 v[4:5], v[8:9], -v[4:5]
	v_fma_f64 v[10:11], v[16:17], 2.0, -v[2:3]
	v_add3_u32 v16, 0, v63, v51
	v_fma_f64 v[14:15], v[12:13], 2.0, -v[6:7]
	v_fma_f64 v[12:13], v[8:9], 2.0, -v[4:5]
	v_fma_f64 v[8:9], v[18:19], 2.0, -v[0:1]
	ds_write_b128 v16, v[12:15]
	ds_write_b128 v61, v[8:11] offset:304
	ds_write_b128 v61, v[4:7] offset:480
	;; [unrolled: 1-line block ×3, first 2 shown]
.LBB0_17:
	s_or_b64 exec, exec, s[4:5]
	s_waitcnt lgkmcnt(0)
	; wave barrier
	s_waitcnt lgkmcnt(0)
	ds_read_b128 v[4:7], v59
	v_sub_u32_e32 v12, v58, v60
	v_cmp_ne_u32_e64 s[0:1], 0, v50
                                        ; implicit-def: $vgpr2_vgpr3
                                        ; implicit-def: $vgpr10_vgpr11
                                        ; implicit-def: $vgpr8_vgpr9
	s_and_saveexec_b64 s[2:3], s[0:1]
	s_xor_b64 s[2:3], exec, s[2:3]
	s_cbranch_execz .LBB0_19
; %bb.18:
	v_mov_b32_e32 v51, 0
	v_lshlrev_b64 v[0:1], 4, v[50:51]
	v_mov_b32_e32 v2, s13
	v_add_co_u32_e64 v0, s[0:1], s12, v0
	v_addc_co_u32_e64 v1, s[0:1], v2, v1, s[0:1]
	global_load_dwordx4 v[0:3], v[0:1], off offset:528
	ds_read_b128 v[8:11], v12 offset:704
	s_waitcnt lgkmcnt(0)
	v_add_f64 v[13:14], v[4:5], -v[8:9]
	v_add_f64 v[15:16], v[6:7], v[10:11]
	v_add_f64 v[6:7], v[6:7], -v[10:11]
	v_add_f64 v[4:5], v[4:5], v[8:9]
	v_mul_f64 v[13:14], v[13:14], 0.5
	v_mul_f64 v[8:9], v[15:16], 0.5
	;; [unrolled: 1-line block ×3, first 2 shown]
	s_waitcnt vmcnt(0)
	v_mul_f64 v[10:11], v[13:14], v[2:3]
	v_fma_f64 v[15:16], v[8:9], v[2:3], v[6:7]
	v_fma_f64 v[2:3], v[8:9], v[2:3], -v[6:7]
	v_fma_f64 v[17:18], v[4:5], 0.5, v[10:11]
	v_fma_f64 v[4:5], v[4:5], 0.5, -v[10:11]
	v_fma_f64 v[10:11], -v[0:1], v[13:14], v[15:16]
	v_fma_f64 v[2:3], -v[0:1], v[13:14], v[2:3]
	v_fma_f64 v[6:7], v[8:9], v[0:1], v[17:18]
	v_fma_f64 v[0:1], -v[8:9], v[0:1], v[4:5]
	v_mov_b32_e32 v8, v50
	v_mov_b32_e32 v9, v51
                                        ; implicit-def: $vgpr4_vgpr5
	ds_write_b64 v59, v[6:7]
.LBB0_19:
	s_andn2_saveexec_b64 s[0:1], s[2:3]
	s_cbranch_execz .LBB0_21
; %bb.20:
	s_waitcnt lgkmcnt(0)
	v_add_f64 v[2:3], v[4:5], v[6:7]
	ds_read_b64 v[13:14], v58 offset:360
	v_add_f64 v[0:1], v[4:5], -v[6:7]
	v_mov_b32_e32 v10, 0
	v_mov_b32_e32 v8, 0
	;; [unrolled: 1-line block ×3, first 2 shown]
	s_waitcnt lgkmcnt(0)
	v_xor_b32_e32 v14, 0x80000000, v14
	ds_write_b64 v58, v[13:14] offset:360
	ds_write_b64 v59, v[2:3]
	v_mov_b32_e32 v2, v10
	v_mov_b32_e32 v9, 0
	;; [unrolled: 1-line block ×3, first 2 shown]
.LBB0_21:
	s_or_b64 exec, exec, s[0:1]
	v_mov_b32_e32 v56, 0
	s_waitcnt lgkmcnt(0)
	v_lshlrev_b64 v[4:5], 4, v[55:56]
	v_mov_b32_e32 v6, s13
	v_add_co_u32_e64 v4, s[0:1], s12, v4
	v_addc_co_u32_e64 v5, s[0:1], v6, v5, s[0:1]
	global_load_dwordx4 v[4:7], v[4:5], off offset:528
	v_mov_b32_e32 v55, v56
	v_lshlrev_b64 v[13:14], 4, v[54:55]
	v_mov_b32_e32 v15, s13
	v_add_co_u32_e64 v13, s[0:1], s12, v13
	v_addc_co_u32_e64 v14, s[0:1], v15, v14, s[0:1]
	global_load_dwordx4 v[13:16], v[13:14], off offset:528
	ds_write_b64 v59, v[10:11] offset:8
	ds_write_b128 v12, v[0:3] offset:704
	ds_read_b128 v[0:3], v62
	ds_read_b128 v[17:20], v12 offset:640
	s_add_u32 s0, s12, 0x210
	v_lshlrev_b64 v[8:9], 4, v[8:9]
	s_addc_u32 s1, s13, 0
	v_lshl_add_u32 v27, v54, 4, v58
	s_waitcnt lgkmcnt(0)
	v_add_f64 v[10:11], v[0:1], -v[17:18]
	v_add_f64 v[21:22], v[2:3], v[19:20]
	v_add_f64 v[2:3], v[2:3], -v[19:20]
	v_add_f64 v[0:1], v[0:1], v[17:18]
	v_mul_f64 v[10:11], v[10:11], 0.5
	v_mul_f64 v[25:26], v[21:22], 0.5
	;; [unrolled: 1-line block ×3, first 2 shown]
	v_mov_b32_e32 v21, s1
	s_waitcnt vmcnt(1)
	v_mul_f64 v[17:18], v[10:11], v[6:7]
	v_fma_f64 v[19:20], v[25:26], v[6:7], v[2:3]
	v_fma_f64 v[2:3], v[25:26], v[6:7], -v[2:3]
	v_fma_f64 v[6:7], v[0:1], 0.5, v[17:18]
	v_fma_f64 v[17:18], v[0:1], 0.5, -v[17:18]
	v_add_co_u32_e64 v0, s[0:1], s0, v8
	v_addc_co_u32_e64 v1, s[0:1], v21, v9, s[0:1]
	global_load_dwordx4 v[21:24], v[0:1], off offset:192
	v_fma_f64 v[8:9], -v[4:5], v[10:11], v[19:20]
	v_fma_f64 v[6:7], v[25:26], v[4:5], v[6:7]
	v_fma_f64 v[19:20], -v[4:5], v[10:11], v[2:3]
	v_fma_f64 v[17:18], -v[25:26], v[4:5], v[17:18]
	ds_write_b128 v62, v[6:9]
	ds_write_b128 v12, v[17:20] offset:640
	ds_read_b128 v[2:5], v27
	ds_read_b128 v[6:9], v12 offset:576
	s_waitcnt lgkmcnt(0)
	v_add_f64 v[10:11], v[2:3], -v[6:7]
	v_add_f64 v[17:18], v[4:5], v[8:9]
	v_add_f64 v[4:5], v[4:5], -v[8:9]
	v_add_f64 v[2:3], v[2:3], v[6:7]
	v_mul_f64 v[10:11], v[10:11], 0.5
	v_mul_f64 v[17:18], v[17:18], 0.5
	;; [unrolled: 1-line block ×3, first 2 shown]
	s_waitcnt vmcnt(1)
	v_mul_f64 v[6:7], v[10:11], v[15:16]
	v_fma_f64 v[8:9], v[17:18], v[15:16], v[4:5]
	v_fma_f64 v[15:16], v[17:18], v[15:16], -v[4:5]
	v_fma_f64 v[19:20], v[2:3], 0.5, v[6:7]
	v_fma_f64 v[25:26], v[2:3], 0.5, -v[6:7]
	global_load_dwordx4 v[2:5], v[0:1], off offset:256
	v_fma_f64 v[8:9], -v[13:14], v[10:11], v[8:9]
	v_fma_f64 v[15:16], -v[13:14], v[10:11], v[15:16]
	v_fma_f64 v[6:7], v[17:18], v[13:14], v[19:20]
	v_fma_f64 v[13:14], -v[17:18], v[13:14], v[25:26]
	ds_write_b128 v27, v[6:9]
	ds_write_b128 v12, v[13:16] offset:576
	ds_read_b128 v[6:9], v59 offset:192
	ds_read_b128 v[13:16], v12 offset:512
	s_waitcnt lgkmcnt(0)
	v_add_f64 v[10:11], v[6:7], -v[13:14]
	v_add_f64 v[17:18], v[8:9], v[15:16]
	v_add_f64 v[8:9], v[8:9], -v[15:16]
	v_add_f64 v[6:7], v[6:7], v[13:14]
	v_mul_f64 v[10:11], v[10:11], 0.5
	v_mul_f64 v[17:18], v[17:18], 0.5
	v_mul_f64 v[8:9], v[8:9], 0.5
	s_waitcnt vmcnt(1)
	v_mul_f64 v[13:14], v[10:11], v[23:24]
	v_fma_f64 v[15:16], v[17:18], v[23:24], v[8:9]
	v_fma_f64 v[19:20], v[17:18], v[23:24], -v[8:9]
	v_fma_f64 v[23:24], v[6:7], 0.5, v[13:14]
	v_fma_f64 v[13:14], v[6:7], 0.5, -v[13:14]
	v_fma_f64 v[8:9], -v[21:22], v[10:11], v[15:16]
	v_fma_f64 v[15:16], -v[21:22], v[10:11], v[19:20]
	v_fma_f64 v[6:7], v[17:18], v[21:22], v[23:24]
	v_fma_f64 v[13:14], -v[17:18], v[21:22], v[13:14]
	ds_write_b128 v59, v[6:9] offset:192
	ds_write_b128 v12, v[13:16] offset:512
	ds_read_b128 v[6:9], v59 offset:256
	ds_read_b128 v[13:16], v12 offset:448
	s_waitcnt lgkmcnt(0)
	v_add_f64 v[10:11], v[6:7], -v[13:14]
	v_add_f64 v[17:18], v[8:9], v[15:16]
	v_add_f64 v[8:9], v[8:9], -v[15:16]
	v_add_f64 v[6:7], v[6:7], v[13:14]
	v_mul_f64 v[10:11], v[10:11], 0.5
	v_mul_f64 v[15:16], v[17:18], 0.5
	;; [unrolled: 1-line block ×3, first 2 shown]
	s_waitcnt vmcnt(0)
	v_mul_f64 v[13:14], v[10:11], v[4:5]
	v_fma_f64 v[17:18], v[15:16], v[4:5], v[8:9]
	v_fma_f64 v[4:5], v[15:16], v[4:5], -v[8:9]
	v_fma_f64 v[8:9], v[6:7], 0.5, v[13:14]
	v_fma_f64 v[13:14], v[6:7], 0.5, -v[13:14]
	v_fma_f64 v[6:7], -v[2:3], v[10:11], v[17:18]
	v_fma_f64 v[10:11], -v[2:3], v[10:11], v[4:5]
	v_fma_f64 v[4:5], v[15:16], v[2:3], v[8:9]
	v_fma_f64 v[8:9], -v[15:16], v[2:3], v[13:14]
	v_or_b32_e32 v2, 20, v50
	v_cmp_gt_u32_e64 s[0:1], 22, v2
	ds_write_b128 v59, v[4:7] offset:256
	ds_write_b128 v12, v[8:11] offset:448
	s_and_saveexec_b64 s[2:3], s[0:1]
	s_cbranch_execz .LBB0_23
; %bb.22:
	global_load_dwordx4 v[0:3], v[0:1], off offset:320
	ds_read_b128 v[4:7], v59 offset:320
	ds_read_b128 v[8:11], v12 offset:384
	s_waitcnt lgkmcnt(0)
	v_add_f64 v[13:14], v[4:5], -v[8:9]
	v_add_f64 v[15:16], v[6:7], v[10:11]
	v_add_f64 v[6:7], v[6:7], -v[10:11]
	v_add_f64 v[4:5], v[4:5], v[8:9]
	v_mul_f64 v[10:11], v[13:14], 0.5
	v_mul_f64 v[13:14], v[15:16], 0.5
	;; [unrolled: 1-line block ×3, first 2 shown]
	s_waitcnt vmcnt(0)
	v_mul_f64 v[8:9], v[10:11], v[2:3]
	v_fma_f64 v[15:16], v[13:14], v[2:3], v[6:7]
	v_fma_f64 v[2:3], v[13:14], v[2:3], -v[6:7]
	v_fma_f64 v[6:7], v[4:5], 0.5, v[8:9]
	v_fma_f64 v[17:18], v[4:5], 0.5, -v[8:9]
	v_fma_f64 v[4:5], -v[0:1], v[10:11], v[15:16]
	v_fma_f64 v[8:9], -v[0:1], v[10:11], v[2:3]
	v_fma_f64 v[2:3], v[13:14], v[0:1], v[6:7]
	v_fma_f64 v[6:7], -v[13:14], v[0:1], v[17:18]
	ds_write_b128 v59, v[2:5] offset:320
	ds_write_b128 v12, v[6:9] offset:384
.LBB0_23:
	s_or_b64 exec, exec, s[2:3]
	s_waitcnt lgkmcnt(0)
	; wave barrier
	s_waitcnt lgkmcnt(0)
	s_and_saveexec_b64 s[0:1], vcc
	s_cbranch_execz .LBB0_26
; %bb.24:
	v_mul_lo_u32 v2, s7, v52
	v_mul_lo_u32 v3, s6, v53
	v_mad_u64_u32 v[0:1], s[0:1], s6, v52, 0
	v_mov_b32_e32 v7, s11
	v_mov_b32_e32 v51, 0
	v_add3_u32 v1, v1, v3, v2
	v_lshlrev_b64 v[0:1], 4, v[0:1]
	v_lshl_add_u32 v2, v50, 4, v58
	v_add_co_u32_e32 v8, vcc, s10, v0
	v_addc_co_u32_e32 v7, vcc, v7, v1, vcc
	v_lshlrev_b64 v[0:1], 4, v[48:49]
	ds_read_b128 v[3:6], v2
	v_add_co_u32_e32 v0, vcc, v8, v0
	v_addc_co_u32_e32 v1, vcc, v7, v1, vcc
	v_lshlrev_b64 v[7:8], 4, v[50:51]
	v_add_co_u32_e32 v11, vcc, v0, v7
	v_addc_co_u32_e32 v12, vcc, v1, v8, vcc
	ds_read_b128 v[7:10], v2 offset:64
	s_waitcnt lgkmcnt(1)
	global_store_dwordx4 v[11:12], v[3:6], off
	s_nop 0
	v_add_u32_e32 v3, 4, v50
	v_mov_b32_e32 v4, v51
	v_lshlrev_b64 v[3:4], 4, v[3:4]
	v_add_co_u32_e32 v3, vcc, v0, v3
	v_addc_co_u32_e32 v4, vcc, v1, v4, vcc
	s_waitcnt lgkmcnt(0)
	global_store_dwordx4 v[3:4], v[7:10], off
	ds_read_b128 v[3:6], v2 offset:128
	v_add_u32_e32 v7, 8, v50
	v_mov_b32_e32 v8, v51
	v_lshlrev_b64 v[7:8], 4, v[7:8]
	v_add_co_u32_e32 v11, vcc, v0, v7
	v_addc_co_u32_e32 v12, vcc, v1, v8, vcc
	ds_read_b128 v[7:10], v2 offset:192
	s_waitcnt lgkmcnt(1)
	global_store_dwordx4 v[11:12], v[3:6], off
	s_nop 0
	v_add_u32_e32 v3, 12, v50
	v_mov_b32_e32 v4, v51
	v_lshlrev_b64 v[3:4], 4, v[3:4]
	v_add_co_u32_e32 v3, vcc, v0, v3
	v_addc_co_u32_e32 v4, vcc, v1, v4, vcc
	s_waitcnt lgkmcnt(0)
	global_store_dwordx4 v[3:4], v[7:10], off
	ds_read_b128 v[3:6], v2 offset:256
	v_add_u32_e32 v7, 16, v50
	v_mov_b32_e32 v8, v51
	;; [unrolled: 17-line block ×5, first 2 shown]
	v_lshlrev_b64 v[7:8], 4, v[7:8]
	v_add_co_u32_e32 v7, vcc, v0, v7
	v_addc_co_u32_e32 v8, vcc, v1, v8, vcc
	v_cmp_eq_u32_e32 vcc, 3, v50
	s_waitcnt lgkmcnt(0)
	global_store_dwordx4 v[7:8], v[3:6], off
	s_and_b64 exec, exec, vcc
	s_cbranch_execz .LBB0_26
; %bb.25:
	ds_read_b128 v[2:5], v2 offset:656
	s_waitcnt lgkmcnt(0)
	global_store_dwordx4 v[0:1], v[2:5], off offset:704
.LBB0_26:
	s_endpgm
	.section	.rodata,"a",@progbits
	.p2align	6, 0x0
	.amdhsa_kernel fft_rtc_back_len44_factors_11_4_wgs_64_tpt_4_halfLds_dp_op_CI_CI_unitstride_sbrr_R2C_dirReg
		.amdhsa_group_segment_fixed_size 0
		.amdhsa_private_segment_fixed_size 0
		.amdhsa_kernarg_size 104
		.amdhsa_user_sgpr_count 6
		.amdhsa_user_sgpr_private_segment_buffer 1
		.amdhsa_user_sgpr_dispatch_ptr 0
		.amdhsa_user_sgpr_queue_ptr 0
		.amdhsa_user_sgpr_kernarg_segment_ptr 1
		.amdhsa_user_sgpr_dispatch_id 0
		.amdhsa_user_sgpr_flat_scratch_init 0
		.amdhsa_user_sgpr_private_segment_size 0
		.amdhsa_uses_dynamic_stack 0
		.amdhsa_system_sgpr_private_segment_wavefront_offset 0
		.amdhsa_system_sgpr_workgroup_id_x 1
		.amdhsa_system_sgpr_workgroup_id_y 0
		.amdhsa_system_sgpr_workgroup_id_z 0
		.amdhsa_system_sgpr_workgroup_info 0
		.amdhsa_system_vgpr_workitem_id 0
		.amdhsa_next_free_vgpr 112
		.amdhsa_next_free_sgpr 38
		.amdhsa_reserve_vcc 1
		.amdhsa_reserve_flat_scratch 0
		.amdhsa_float_round_mode_32 0
		.amdhsa_float_round_mode_16_64 0
		.amdhsa_float_denorm_mode_32 3
		.amdhsa_float_denorm_mode_16_64 3
		.amdhsa_dx10_clamp 1
		.amdhsa_ieee_mode 1
		.amdhsa_fp16_overflow 0
		.amdhsa_exception_fp_ieee_invalid_op 0
		.amdhsa_exception_fp_denorm_src 0
		.amdhsa_exception_fp_ieee_div_zero 0
		.amdhsa_exception_fp_ieee_overflow 0
		.amdhsa_exception_fp_ieee_underflow 0
		.amdhsa_exception_fp_ieee_inexact 0
		.amdhsa_exception_int_div_zero 0
	.end_amdhsa_kernel
	.text
.Lfunc_end0:
	.size	fft_rtc_back_len44_factors_11_4_wgs_64_tpt_4_halfLds_dp_op_CI_CI_unitstride_sbrr_R2C_dirReg, .Lfunc_end0-fft_rtc_back_len44_factors_11_4_wgs_64_tpt_4_halfLds_dp_op_CI_CI_unitstride_sbrr_R2C_dirReg
                                        ; -- End function
	.section	.AMDGPU.csdata,"",@progbits
; Kernel info:
; codeLenInByte = 7452
; NumSgprs: 42
; NumVgprs: 112
; ScratchSize: 0
; MemoryBound: 0
; FloatMode: 240
; IeeeMode: 1
; LDSByteSize: 0 bytes/workgroup (compile time only)
; SGPRBlocks: 5
; VGPRBlocks: 27
; NumSGPRsForWavesPerEU: 42
; NumVGPRsForWavesPerEU: 112
; Occupancy: 2
; WaveLimiterHint : 1
; COMPUTE_PGM_RSRC2:SCRATCH_EN: 0
; COMPUTE_PGM_RSRC2:USER_SGPR: 6
; COMPUTE_PGM_RSRC2:TRAP_HANDLER: 0
; COMPUTE_PGM_RSRC2:TGID_X_EN: 1
; COMPUTE_PGM_RSRC2:TGID_Y_EN: 0
; COMPUTE_PGM_RSRC2:TGID_Z_EN: 0
; COMPUTE_PGM_RSRC2:TIDIG_COMP_CNT: 0
	.type	__hip_cuid_f7a23b8eab1b31d0,@object ; @__hip_cuid_f7a23b8eab1b31d0
	.section	.bss,"aw",@nobits
	.globl	__hip_cuid_f7a23b8eab1b31d0
__hip_cuid_f7a23b8eab1b31d0:
	.byte	0                               ; 0x0
	.size	__hip_cuid_f7a23b8eab1b31d0, 1

	.ident	"AMD clang version 19.0.0git (https://github.com/RadeonOpenCompute/llvm-project roc-6.4.0 25133 c7fe45cf4b819c5991fe208aaa96edf142730f1d)"
	.section	".note.GNU-stack","",@progbits
	.addrsig
	.addrsig_sym __hip_cuid_f7a23b8eab1b31d0
	.amdgpu_metadata
---
amdhsa.kernels:
  - .args:
      - .actual_access:  read_only
        .address_space:  global
        .offset:         0
        .size:           8
        .value_kind:     global_buffer
      - .offset:         8
        .size:           8
        .value_kind:     by_value
      - .actual_access:  read_only
        .address_space:  global
        .offset:         16
        .size:           8
        .value_kind:     global_buffer
      - .actual_access:  read_only
        .address_space:  global
        .offset:         24
        .size:           8
        .value_kind:     global_buffer
      - .actual_access:  read_only
        .address_space:  global
        .offset:         32
        .size:           8
        .value_kind:     global_buffer
      - .offset:         40
        .size:           8
        .value_kind:     by_value
      - .actual_access:  read_only
        .address_space:  global
        .offset:         48
        .size:           8
        .value_kind:     global_buffer
      - .actual_access:  read_only
        .address_space:  global
        .offset:         56
        .size:           8
        .value_kind:     global_buffer
      - .offset:         64
        .size:           4
        .value_kind:     by_value
      - .actual_access:  read_only
        .address_space:  global
        .offset:         72
        .size:           8
        .value_kind:     global_buffer
      - .actual_access:  read_only
        .address_space:  global
        .offset:         80
        .size:           8
        .value_kind:     global_buffer
      - .actual_access:  read_only
        .address_space:  global
        .offset:         88
        .size:           8
        .value_kind:     global_buffer
      - .actual_access:  write_only
        .address_space:  global
        .offset:         96
        .size:           8
        .value_kind:     global_buffer
    .group_segment_fixed_size: 0
    .kernarg_segment_align: 8
    .kernarg_segment_size: 104
    .language:       OpenCL C
    .language_version:
      - 2
      - 0
    .max_flat_workgroup_size: 64
    .name:           fft_rtc_back_len44_factors_11_4_wgs_64_tpt_4_halfLds_dp_op_CI_CI_unitstride_sbrr_R2C_dirReg
    .private_segment_fixed_size: 0
    .sgpr_count:     42
    .sgpr_spill_count: 0
    .symbol:         fft_rtc_back_len44_factors_11_4_wgs_64_tpt_4_halfLds_dp_op_CI_CI_unitstride_sbrr_R2C_dirReg.kd
    .uniform_work_group_size: 1
    .uses_dynamic_stack: false
    .vgpr_count:     112
    .vgpr_spill_count: 0
    .wavefront_size: 64
amdhsa.target:   amdgcn-amd-amdhsa--gfx906
amdhsa.version:
  - 1
  - 2
...

	.end_amdgpu_metadata
